;; amdgpu-corpus repo=ROCm/rocFFT kind=compiled arch=gfx950 opt=O3
	.text
	.amdgcn_target "amdgcn-amd-amdhsa--gfx950"
	.amdhsa_code_object_version 6
	.protected	fft_rtc_fwd_len1296_factors_6_6_6_6_wgs_108_tpt_108_halfLds_dp_ip_CI_sbrr_dirReg ; -- Begin function fft_rtc_fwd_len1296_factors_6_6_6_6_wgs_108_tpt_108_halfLds_dp_ip_CI_sbrr_dirReg
	.globl	fft_rtc_fwd_len1296_factors_6_6_6_6_wgs_108_tpt_108_halfLds_dp_ip_CI_sbrr_dirReg
	.p2align	8
	.type	fft_rtc_fwd_len1296_factors_6_6_6_6_wgs_108_tpt_108_halfLds_dp_ip_CI_sbrr_dirReg,@function
fft_rtc_fwd_len1296_factors_6_6_6_6_wgs_108_tpt_108_halfLds_dp_ip_CI_sbrr_dirReg: ; @fft_rtc_fwd_len1296_factors_6_6_6_6_wgs_108_tpt_108_halfLds_dp_ip_CI_sbrr_dirReg
; %bb.0:
	s_load_dwordx2 s[12:13], s[0:1], 0x18
	s_load_dwordx4 s[4:7], s[0:1], 0x0
	s_load_dwordx2 s[10:11], s[0:1], 0x50
	v_mul_u32_u24_e32 v1, 0x25f, v0
	v_add_u32_sdwa v6, s2, v1 dst_sel:DWORD dst_unused:UNUSED_PAD src0_sel:DWORD src1_sel:WORD_1
	s_waitcnt lgkmcnt(0)
	s_load_dwordx2 s[8:9], s[12:13], 0x0
	v_mov_b32_e32 v4, 0
	v_cmp_lt_u64_e64 s[2:3], s[6:7], 2
	v_mov_b32_e32 v7, v4
	s_and_b64 vcc, exec, s[2:3]
	v_mov_b64_e32 v[2:3], 0
	s_cbranch_vccnz .LBB0_8
; %bb.1:
	s_load_dwordx2 s[2:3], s[0:1], 0x10
	s_add_u32 s14, s12, 8
	s_addc_u32 s15, s13, 0
	s_mov_b64 s[16:17], 1
	v_mov_b64_e32 v[2:3], 0
	s_waitcnt lgkmcnt(0)
	s_add_u32 s18, s2, 8
	s_addc_u32 s19, s3, 0
.LBB0_2:                                ; =>This Inner Loop Header: Depth=1
	s_load_dwordx2 s[20:21], s[18:19], 0x0
                                        ; implicit-def: $vgpr8_vgpr9
	s_waitcnt lgkmcnt(0)
	v_or_b32_e32 v5, s21, v7
	v_cmp_ne_u64_e32 vcc, 0, v[4:5]
	s_and_saveexec_b64 s[2:3], vcc
	s_xor_b64 s[22:23], exec, s[2:3]
	s_cbranch_execz .LBB0_4
; %bb.3:                                ;   in Loop: Header=BB0_2 Depth=1
	v_cvt_f32_u32_e32 v1, s20
	v_cvt_f32_u32_e32 v5, s21
	s_sub_u32 s2, 0, s20
	s_subb_u32 s3, 0, s21
	v_fmac_f32_e32 v1, 0x4f800000, v5
	v_rcp_f32_e32 v1, v1
	s_nop 0
	v_mul_f32_e32 v1, 0x5f7ffffc, v1
	v_mul_f32_e32 v5, 0x2f800000, v1
	v_trunc_f32_e32 v5, v5
	v_fmac_f32_e32 v1, 0xcf800000, v5
	v_cvt_u32_f32_e32 v5, v5
	v_cvt_u32_f32_e32 v1, v1
	v_mul_lo_u32 v8, s2, v5
	v_mul_hi_u32 v10, s2, v1
	v_mul_lo_u32 v9, s3, v1
	v_add_u32_e32 v10, v10, v8
	v_mul_lo_u32 v12, s2, v1
	v_add_u32_e32 v13, v10, v9
	v_mul_hi_u32 v8, v1, v12
	v_mul_hi_u32 v11, v1, v13
	v_mul_lo_u32 v10, v1, v13
	v_mov_b32_e32 v9, v4
	v_lshl_add_u64 v[8:9], v[8:9], 0, v[10:11]
	v_mul_hi_u32 v11, v5, v12
	v_mul_lo_u32 v12, v5, v12
	v_add_co_u32_e32 v8, vcc, v8, v12
	v_mul_hi_u32 v10, v5, v13
	s_nop 0
	v_addc_co_u32_e32 v8, vcc, v9, v11, vcc
	v_mov_b32_e32 v9, v4
	s_nop 0
	v_addc_co_u32_e32 v11, vcc, 0, v10, vcc
	v_mul_lo_u32 v10, v5, v13
	v_lshl_add_u64 v[8:9], v[8:9], 0, v[10:11]
	v_add_co_u32_e32 v1, vcc, v1, v8
	v_mul_lo_u32 v10, s2, v1
	s_nop 0
	v_addc_co_u32_e32 v5, vcc, v5, v9, vcc
	v_mul_lo_u32 v8, s2, v5
	v_mul_hi_u32 v9, s2, v1
	v_add_u32_e32 v8, v9, v8
	v_mul_lo_u32 v9, s3, v1
	v_add_u32_e32 v12, v8, v9
	v_mul_hi_u32 v14, v5, v10
	v_mul_lo_u32 v15, v5, v10
	v_mul_hi_u32 v9, v1, v12
	v_mul_lo_u32 v8, v1, v12
	v_mul_hi_u32 v10, v1, v10
	v_mov_b32_e32 v11, v4
	v_lshl_add_u64 v[8:9], v[10:11], 0, v[8:9]
	v_add_co_u32_e32 v8, vcc, v8, v15
	v_mul_hi_u32 v13, v5, v12
	s_nop 0
	v_addc_co_u32_e32 v8, vcc, v9, v14, vcc
	v_mul_lo_u32 v10, v5, v12
	s_nop 0
	v_addc_co_u32_e32 v11, vcc, 0, v13, vcc
	v_mov_b32_e32 v9, v4
	v_lshl_add_u64 v[8:9], v[8:9], 0, v[10:11]
	v_add_co_u32_e32 v1, vcc, v1, v8
	v_mul_hi_u32 v10, v6, v1
	s_nop 0
	v_addc_co_u32_e32 v5, vcc, v5, v9, vcc
	v_mad_u64_u32 v[8:9], s[2:3], v6, v5, 0
	v_mov_b32_e32 v11, v4
	v_lshl_add_u64 v[8:9], v[10:11], 0, v[8:9]
	v_mad_u64_u32 v[12:13], s[2:3], v7, v1, 0
	v_add_co_u32_e32 v1, vcc, v8, v12
	v_mad_u64_u32 v[10:11], s[2:3], v7, v5, 0
	s_nop 0
	v_addc_co_u32_e32 v8, vcc, v9, v13, vcc
	v_mov_b32_e32 v9, v4
	s_nop 0
	v_addc_co_u32_e32 v11, vcc, 0, v11, vcc
	v_lshl_add_u64 v[8:9], v[8:9], 0, v[10:11]
	v_mul_lo_u32 v1, s21, v8
	v_mul_lo_u32 v5, s20, v9
	v_mad_u64_u32 v[10:11], s[2:3], s20, v8, 0
	v_add3_u32 v1, v11, v5, v1
	v_sub_u32_e32 v5, v7, v1
	v_mov_b32_e32 v11, s21
	v_sub_co_u32_e32 v14, vcc, v6, v10
	v_lshl_add_u64 v[12:13], v[8:9], 0, 1
	s_nop 0
	v_subb_co_u32_e64 v5, s[2:3], v5, v11, vcc
	v_subrev_co_u32_e64 v10, s[2:3], s20, v14
	v_subb_co_u32_e32 v1, vcc, v7, v1, vcc
	s_nop 0
	v_subbrev_co_u32_e64 v5, s[2:3], 0, v5, s[2:3]
	v_cmp_le_u32_e64 s[2:3], s21, v5
	v_cmp_le_u32_e32 vcc, s21, v1
	s_nop 0
	v_cndmask_b32_e64 v11, 0, -1, s[2:3]
	v_cmp_le_u32_e64 s[2:3], s20, v10
	s_nop 1
	v_cndmask_b32_e64 v10, 0, -1, s[2:3]
	v_cmp_eq_u32_e64 s[2:3], s21, v5
	s_nop 1
	v_cndmask_b32_e64 v5, v11, v10, s[2:3]
	v_lshl_add_u64 v[10:11], v[8:9], 0, 2
	v_cmp_ne_u32_e64 s[2:3], 0, v5
	s_nop 1
	v_cndmask_b32_e64 v5, v13, v11, s[2:3]
	v_cndmask_b32_e64 v11, 0, -1, vcc
	v_cmp_le_u32_e32 vcc, s20, v14
	s_nop 1
	v_cndmask_b32_e64 v13, 0, -1, vcc
	v_cmp_eq_u32_e32 vcc, s21, v1
	s_nop 1
	v_cndmask_b32_e32 v1, v11, v13, vcc
	v_cmp_ne_u32_e32 vcc, 0, v1
	v_cndmask_b32_e64 v1, v12, v10, s[2:3]
	s_nop 0
	v_cndmask_b32_e32 v9, v9, v5, vcc
	v_cndmask_b32_e32 v8, v8, v1, vcc
.LBB0_4:                                ;   in Loop: Header=BB0_2 Depth=1
	s_andn2_saveexec_b64 s[2:3], s[22:23]
	s_cbranch_execz .LBB0_6
; %bb.5:                                ;   in Loop: Header=BB0_2 Depth=1
	v_cvt_f32_u32_e32 v1, s20
	s_sub_i32 s22, 0, s20
	v_rcp_iflag_f32_e32 v1, v1
	s_nop 0
	v_mul_f32_e32 v1, 0x4f7ffffe, v1
	v_cvt_u32_f32_e32 v1, v1
	v_mul_lo_u32 v5, s22, v1
	v_mul_hi_u32 v5, v1, v5
	v_add_u32_e32 v1, v1, v5
	v_mul_hi_u32 v1, v6, v1
	v_mul_lo_u32 v5, v1, s20
	v_sub_u32_e32 v5, v6, v5
	v_add_u32_e32 v8, 1, v1
	v_subrev_u32_e32 v9, s20, v5
	v_cmp_le_u32_e32 vcc, s20, v5
	s_nop 1
	v_cndmask_b32_e32 v5, v5, v9, vcc
	v_cndmask_b32_e32 v1, v1, v8, vcc
	v_add_u32_e32 v8, 1, v1
	v_cmp_le_u32_e32 vcc, s20, v5
	v_mov_b32_e32 v9, v4
	s_nop 0
	v_cndmask_b32_e32 v8, v1, v8, vcc
.LBB0_6:                                ;   in Loop: Header=BB0_2 Depth=1
	s_or_b64 exec, exec, s[2:3]
	v_mad_u64_u32 v[10:11], s[2:3], v8, s20, 0
	s_load_dwordx2 s[2:3], s[14:15], 0x0
	v_mul_lo_u32 v1, v9, s20
	v_mul_lo_u32 v5, v8, s21
	v_add3_u32 v1, v11, v5, v1
	v_sub_co_u32_e32 v5, vcc, v6, v10
	s_add_u32 s16, s16, 1
	s_nop 0
	v_subb_co_u32_e32 v1, vcc, v7, v1, vcc
	s_addc_u32 s17, s17, 0
	s_waitcnt lgkmcnt(0)
	v_mul_lo_u32 v1, s2, v1
	v_mul_lo_u32 v6, s3, v5
	v_mad_u64_u32 v[2:3], s[2:3], s2, v5, v[2:3]
	s_add_u32 s14, s14, 8
	v_add3_u32 v3, v6, v3, v1
	s_addc_u32 s15, s15, 0
	v_mov_b64_e32 v[6:7], s[6:7]
	s_add_u32 s18, s18, 8
	v_cmp_ge_u64_e32 vcc, s[16:17], v[6:7]
	s_addc_u32 s19, s19, 0
	s_cbranch_vccnz .LBB0_9
; %bb.7:                                ;   in Loop: Header=BB0_2 Depth=1
	v_mov_b64_e32 v[6:7], v[8:9]
	s_branch .LBB0_2
.LBB0_8:
	v_mov_b64_e32 v[8:9], v[6:7]
.LBB0_9:
	s_lshl_b64 s[2:3], s[6:7], 3
	s_add_u32 s2, s12, s2
	s_addc_u32 s3, s13, s3
	s_load_dwordx2 s[6:7], s[2:3], 0x0
	s_load_dwordx2 s[12:13], s[0:1], 0x20
	s_mov_b32 s2, 0x25ed098
                                        ; implicit-def: $vgpr51
	s_waitcnt lgkmcnt(0)
	v_mul_lo_u32 v1, s6, v9
	v_mul_lo_u32 v4, s7, v8
	v_mad_u64_u32 v[2:3], s[0:1], s6, v8, v[2:3]
	v_add3_u32 v3, v4, v3, v1
	v_mul_hi_u32 v1, v0, s2
	v_mul_u32_u24_e32 v1, 0x6c, v1
	v_cmp_gt_u64_e32 vcc, s[12:13], v[8:9]
	v_cmp_le_u64_e64 s[0:1], s[12:13], v[8:9]
	v_sub_u32_e32 v50, v0, v1
	s_and_saveexec_b64 s[2:3], s[0:1]
	s_xor_b64 s[0:1], exec, s[2:3]
; %bb.10:
	v_add_u32_e32 v51, 0x6c, v50
; %bb.11:
	s_or_saveexec_b64 s[0:1], s[0:1]
	v_lshl_add_u64 v[48:49], v[2:3], 4, s[10:11]
                                        ; implicit-def: $vgpr42_vgpr43
                                        ; implicit-def: $vgpr46_vgpr47
                                        ; implicit-def: $vgpr26_vgpr27
                                        ; implicit-def: $vgpr34_vgpr35
                                        ; implicit-def: $vgpr14_vgpr15
                                        ; implicit-def: $vgpr6_vgpr7
                                        ; implicit-def: $vgpr30_vgpr31
                                        ; implicit-def: $vgpr38_vgpr39
                                        ; implicit-def: $vgpr18_vgpr19
                                        ; implicit-def: $vgpr22_vgpr23
                                        ; implicit-def: $vgpr10_vgpr11
                                        ; implicit-def: $vgpr2_vgpr3
	s_xor_b64 exec, exec, s[0:1]
	s_cbranch_execz .LBB0_13
; %bb.12:
	v_mad_u64_u32 v[0:1], s[2:3], s8, v50, 0
	v_mov_b32_e32 v2, v1
	v_mad_u64_u32 v[2:3], s[2:3], s9, v50, v[2:3]
	v_mov_b32_e32 v1, v2
	v_add_u32_e32 v3, 0xd8, v50
	v_lshl_add_u64 v[4:5], v[0:1], 4, v[48:49]
	v_mad_u64_u32 v[0:1], s[2:3], s8, v3, 0
	v_mov_b32_e32 v2, v1
	v_mad_u64_u32 v[2:3], s[2:3], s9, v3, v[2:3]
	v_mov_b32_e32 v1, v2
	v_lshl_add_u64 v[6:7], v[0:1], 4, v[48:49]
	global_load_dwordx4 v[0:3], v[4:5], off
	global_load_dwordx4 v[8:11], v[6:7], off
	v_add_u32_e32 v7, 0x1b0, v50
	v_mad_u64_u32 v[4:5], s[2:3], s8, v7, 0
	v_mov_b32_e32 v6, v5
	v_mad_u64_u32 v[6:7], s[2:3], s9, v7, v[6:7]
	v_add_u32_e32 v13, 0x288, v50
	v_mov_b32_e32 v5, v6
	v_mad_u64_u32 v[6:7], s[2:3], s8, v13, 0
	v_mov_b32_e32 v12, v7
	v_mad_u64_u32 v[12:13], s[2:3], s9, v13, v[12:13]
	v_mov_b32_e32 v7, v12
	v_lshl_add_u64 v[4:5], v[4:5], 4, v[48:49]
	v_lshl_add_u64 v[6:7], v[6:7], 4, v[48:49]
	global_load_dwordx4 v[20:23], v[4:5], off
	global_load_dwordx4 v[16:19], v[6:7], off
	v_add_u32_e32 v7, 0x360, v50
	v_mad_u64_u32 v[4:5], s[2:3], s8, v7, 0
	v_mov_b32_e32 v6, v5
	v_mad_u64_u32 v[6:7], s[2:3], s9, v7, v[6:7]
	v_add_u32_e32 v13, 0x438, v50
	v_mov_b32_e32 v5, v6
	v_mad_u64_u32 v[6:7], s[2:3], s8, v13, 0
	v_mov_b32_e32 v12, v7
	v_mad_u64_u32 v[12:13], s[2:3], s9, v13, v[12:13]
	v_lshl_add_u64 v[4:5], v[4:5], 4, v[48:49]
	v_mov_b32_e32 v7, v12
	v_add_u32_e32 v51, 0x6c, v50
	v_lshl_add_u64 v[6:7], v[6:7], 4, v[48:49]
	global_load_dwordx4 v[36:39], v[4:5], off
	global_load_dwordx4 v[28:31], v[6:7], off
	v_mad_u64_u32 v[4:5], s[2:3], s8, v51, 0
	v_mov_b32_e32 v6, v5
	v_mad_u64_u32 v[6:7], s[2:3], s9, v51, v[6:7]
	v_mov_b32_e32 v5, v6
	v_add_u32_e32 v7, 0x144, v50
	v_lshl_add_u64 v[24:25], v[4:5], 4, v[48:49]
	v_mad_u64_u32 v[4:5], s[2:3], s8, v7, 0
	v_mov_b32_e32 v6, v5
	v_mad_u64_u32 v[6:7], s[2:3], s9, v7, v[6:7]
	v_mov_b32_e32 v5, v6
	v_lshl_add_u64 v[26:27], v[4:5], 4, v[48:49]
	global_load_dwordx4 v[4:7], v[24:25], off
	global_load_dwordx4 v[12:15], v[26:27], off
	v_add_u32_e32 v27, 0x21c, v50
	v_mad_u64_u32 v[24:25], s[2:3], s8, v27, 0
	v_mov_b32_e32 v26, v25
	v_mad_u64_u32 v[26:27], s[2:3], s9, v27, v[26:27]
	v_mov_b32_e32 v25, v26
	v_add_u32_e32 v27, 0x2f4, v50
	v_lshl_add_u64 v[40:41], v[24:25], 4, v[48:49]
	v_mad_u64_u32 v[24:25], s[2:3], s8, v27, 0
	v_mov_b32_e32 v26, v25
	v_mad_u64_u32 v[26:27], s[2:3], s9, v27, v[26:27]
	v_mov_b32_e32 v25, v26
	v_lshl_add_u64 v[42:43], v[24:25], 4, v[48:49]
	global_load_dwordx4 v[32:35], v[40:41], off
	global_load_dwordx4 v[24:27], v[42:43], off
	v_add_u32_e32 v43, 0x3cc, v50
	v_mad_u64_u32 v[40:41], s[2:3], s8, v43, 0
	v_mov_b32_e32 v42, v41
	v_mad_u64_u32 v[42:43], s[2:3], s9, v43, v[42:43]
	v_mov_b32_e32 v41, v42
	v_add_u32_e32 v43, 0x4a4, v50
	v_lshl_add_u64 v[52:53], v[40:41], 4, v[48:49]
	v_mad_u64_u32 v[40:41], s[2:3], s8, v43, 0
	v_mov_b32_e32 v42, v41
	v_mad_u64_u32 v[42:43], s[2:3], s9, v43, v[42:43]
	v_mov_b32_e32 v41, v42
	v_lshl_add_u64 v[54:55], v[40:41], 4, v[48:49]
	global_load_dwordx4 v[44:47], v[52:53], off
	global_load_dwordx4 v[40:43], v[54:55], off
.LBB0_13:
	s_or_b64 exec, exec, s[0:1]
	s_waitcnt vmcnt(7)
	v_add_f64 v[54:55], v[36:37], v[20:21]
	s_mov_b32 s0, 0xe8584caa
	v_add_f64 v[52:53], v[20:21], v[0:1]
	v_fmac_f64_e32 v[0:1], -0.5, v[54:55]
	v_add_f64 v[54:55], v[22:23], -v[38:39]
	s_mov_b32 s1, 0x3febb67a
	s_mov_b32 s3, 0xbfebb67a
	;; [unrolled: 1-line block ×3, first 2 shown]
	v_fma_f64 v[56:57], s[0:1], v[54:55], v[0:1]
	v_fmac_f64_e32 v[0:1], s[2:3], v[54:55]
	v_add_f64 v[54:55], v[22:23], v[2:3]
	v_add_f64 v[22:23], v[38:39], v[22:23]
	v_fmac_f64_e32 v[2:3], -0.5, v[22:23]
	v_add_f64 v[20:21], v[20:21], -v[36:37]
	s_waitcnt vmcnt(6)
	v_add_f64 v[22:23], v[28:29], v[16:17]
	v_add_f64 v[52:53], v[36:37], v[52:53]
	v_fma_f64 v[36:37], s[2:3], v[20:21], v[2:3]
	v_fmac_f64_e32 v[2:3], s[0:1], v[20:21]
	v_add_f64 v[20:21], v[16:17], v[8:9]
	v_fmac_f64_e32 v[8:9], -0.5, v[22:23]
	v_add_f64 v[22:23], v[18:19], -v[30:31]
	v_add_f64 v[54:55], v[38:39], v[54:55]
	v_fma_f64 v[38:39], s[0:1], v[22:23], v[8:9]
	v_fmac_f64_e32 v[8:9], s[2:3], v[22:23]
	v_add_f64 v[22:23], v[18:19], v[10:11]
	v_add_f64 v[18:19], v[30:31], v[18:19]
	v_fmac_f64_e32 v[10:11], -0.5, v[18:19]
	v_add_f64 v[16:17], v[16:17], -v[28:29]
	v_add_f64 v[58:59], v[30:31], v[22:23]
	v_fma_f64 v[22:23], s[2:3], v[16:17], v[10:11]
	v_fmac_f64_e32 v[10:11], s[0:1], v[16:17]
	v_mul_f64 v[62:63], v[8:9], -0.5
	v_mul_f64 v[60:61], v[38:39], 0.5
	v_fmac_f64_e32 v[62:63], s[0:1], v[10:11]
	v_mul_f64 v[64:65], v[10:11], -0.5
	v_mul_f64 v[38:39], v[38:39], s[2:3]
	v_add_f64 v[20:21], v[28:29], v[20:21]
	v_fmac_f64_e32 v[60:61], s[0:1], v[22:23]
	v_fmac_f64_e32 v[64:65], s[2:3], v[8:9]
	v_add_f64 v[8:9], v[0:1], v[62:63]
	v_fmac_f64_e32 v[38:39], 0.5, v[22:23]
	v_add_f64 v[22:23], v[0:1], -v[62:63]
	s_waitcnt vmcnt(3)
	v_add_f64 v[0:1], v[32:33], v[4:5]
	v_add_f64 v[16:17], v[20:21], v[52:53]
	;; [unrolled: 1-line block ×3, first 2 shown]
	v_add_f64 v[10:11], v[52:53], -v[20:21]
	v_add_f64 v[30:31], v[36:37], v[38:39]
	v_add_f64 v[20:21], v[56:57], -v[60:61]
	v_add_f64 v[56:57], v[36:37], -v[38:39]
	s_waitcnt vmcnt(1)
	v_add_f64 v[36:37], v[44:45], v[0:1]
	v_add_f64 v[0:1], v[44:45], v[32:33]
	v_fmac_f64_e32 v[4:5], -0.5, v[0:1]
	v_add_f64 v[0:1], v[34:35], -v[46:47]
	v_fma_f64 v[38:39], s[0:1], v[0:1], v[4:5]
	v_fmac_f64_e32 v[4:5], s[2:3], v[0:1]
	v_add_f64 v[0:1], v[34:35], v[6:7]
	v_add_f64 v[60:61], v[46:47], v[0:1]
	;; [unrolled: 1-line block ×3, first 2 shown]
	v_fmac_f64_e32 v[6:7], -0.5, v[0:1]
	v_add_f64 v[0:1], v[32:33], -v[44:45]
	v_fma_f64 v[62:63], s[2:3], v[0:1], v[6:7]
	v_fmac_f64_e32 v[6:7], s[0:1], v[0:1]
	v_add_f64 v[0:1], v[24:25], v[12:13]
	s_waitcnt vmcnt(0)
	v_add_f64 v[32:33], v[40:41], v[0:1]
	v_add_f64 v[0:1], v[40:41], v[24:25]
	v_fmac_f64_e32 v[12:13], -0.5, v[0:1]
	v_add_f64 v[0:1], v[26:27], -v[42:43]
	v_fma_f64 v[34:35], s[0:1], v[0:1], v[12:13]
	v_fmac_f64_e32 v[12:13], s[2:3], v[0:1]
	v_add_f64 v[0:1], v[26:27], v[14:15]
	v_add_f64 v[46:47], v[42:43], v[0:1]
	v_add_f64 v[0:1], v[42:43], v[26:27]
	v_fmac_f64_e32 v[14:15], -0.5, v[0:1]
	v_add_f64 v[0:1], v[24:25], -v[40:41]
	v_fma_f64 v[26:27], s[2:3], v[0:1], v[14:15]
	v_fmac_f64_e32 v[14:15], s[0:1], v[0:1]
	v_mul_f64 v[42:43], v[12:13], -0.5
	v_add_f64 v[28:29], v[58:59], v[54:55]
	v_add_f64 v[52:53], v[2:3], v[64:65]
	v_add_f64 v[54:55], v[54:55], -v[58:59]
	v_add_f64 v[58:59], v[2:3], -v[64:65]
	v_add_f64 v[0:1], v[32:33], v[36:37]
	v_fmac_f64_e32 v[42:43], s[0:1], v[14:15]
	v_mul_f64 v[64:65], v[14:15], -0.5
	v_add_f64 v[14:15], v[36:37], -v[32:33]
	v_mul_f64 v[36:37], v[34:35], s[2:3]
	v_mul_f64 v[40:41], v[34:35], 0.5
	v_fmac_f64_e32 v[64:65], s[2:3], v[12:13]
	v_add_f64 v[12:13], v[4:5], v[42:43]
	v_fmac_f64_e32 v[36:37], 0.5, v[26:27]
	v_add_f64 v[34:35], v[4:5], -v[42:43]
	v_mul_u32_u24_e32 v4, 6, v50
	v_fmac_f64_e32 v[40:41], s[0:1], v[26:27]
	v_add_f64 v[24:25], v[46:47], v[60:61]
	v_add_f64 v[26:27], v[62:63], v[36:37]
	v_add_f64 v[46:47], v[60:61], -v[46:47]
	v_add_f64 v[60:61], v[62:63], -v[36:37]
	v_lshl_add_u32 v36, v4, 3, 0
	v_mul_i32_i24_e32 v4, 6, v51
	s_movk_i32 s6, 0xffd8
	v_add_f64 v[2:3], v[38:39], v[40:41]
	v_add_f64 v[32:33], v[38:39], -v[40:41]
	v_lshl_add_u32 v37, v4, 3, 0
	v_mad_i32_i24 v38, v50, s6, v36
	v_add_u32_e32 v39, 0x800, v38
	v_add_u32_e32 v40, 0x1000, v38
	;; [unrolled: 1-line block ×4, first 2 shown]
	v_mad_i32_i24 v43, v51, s6, v37
	s_movk_i32 s6, 0xab
	v_add_f64 v[44:45], v[6:7], v[64:65]
	v_add_f64 v[62:63], v[6:7], -v[64:65]
	ds_write_b128 v36, v[16:19]
	ds_write_b128 v36, v[8:11] offset:16
	ds_write_b128 v36, v[20:23] offset:32
	ds_write_b128 v37, v[0:3]
	ds_write_b128 v37, v[12:15] offset:16
	ds_write_b128 v37, v[32:35] offset:32
	s_waitcnt lgkmcnt(0)
	s_barrier
	ds_read2_b64 v[0:3], v38 offset1:216
	ds_read2_b64 v[16:19], v39 offset0:68 offset1:176
	ds_read2_b64 v[12:15], v40 offset0:28 offset1:136
	;; [unrolled: 1-line block ×4, first 2 shown]
	ds_read_b64 v[20:21], v43
	ds_read_b64 v[22:23], v38 offset:9504
	s_waitcnt lgkmcnt(0)
	s_barrier
	ds_write_b128 v36, v[28:31]
	ds_write_b128 v36, v[52:55] offset:16
	ds_write_b128 v36, v[56:59] offset:32
	ds_write_b128 v37, v[24:27]
	ds_write_b128 v37, v[44:47] offset:16
	ds_write_b128 v37, v[60:63] offset:32
	v_mul_lo_u16_sdwa v24, v50, s6 dst_sel:DWORD dst_unused:UNUSED_PAD src0_sel:BYTE_0 src1_sel:DWORD
	v_lshrrev_b16_e32 v45, 10, v24
	v_mul_lo_u16_e32 v24, 6, v45
	v_mul_lo_u16_sdwa v28, v51, s6 dst_sel:DWORD dst_unused:UNUSED_PAD src0_sel:BYTE_0 src1_sel:DWORD
	v_sub_u16_e32 v78, v50, v24
	v_mov_b32_e32 v44, 5
	v_lshrrev_b16_e32 v79, 10, v28
	v_mul_u32_u24_sdwa v24, v78, v44 dst_sel:DWORD dst_unused:UNUSED_PAD src0_sel:BYTE_0 src1_sel:DWORD
	v_mul_lo_u16_e32 v28, 6, v79
	v_lshlrev_b32_e32 v74, 4, v24
	v_sub_u16_e32 v80, v51, v28
	s_waitcnt lgkmcnt(0)
	s_barrier
	global_load_dwordx4 v[24:27], v74, s[4:5] offset:16
	v_mul_u32_u24_sdwa v28, v80, v44 dst_sel:DWORD dst_unused:UNUSED_PAD src0_sel:BYTE_0 src1_sel:DWORD
	v_lshlrev_b32_e32 v81, 4, v28
	global_load_dwordx4 v[28:31], v81, s[4:5]
	global_load_dwordx4 v[32:35], v74, s[4:5] offset:32
	ds_read2_b64 v[52:55], v39 offset0:68 offset1:176
	global_load_dwordx4 v[56:59], v81, s[4:5] offset:16
	global_load_dwordx4 v[60:63], v74, s[4:5]
	global_load_dwordx4 v[64:67], v74, s[4:5] offset:48
	global_load_dwordx4 v[68:71], v74, s[4:5] offset:64
	s_waitcnt vmcnt(6) lgkmcnt(0)
	v_mul_f64 v[46:47], v[54:55], v[26:27]
	v_fma_f64 v[46:47], v[18:19], v[24:25], -v[46:47]
	v_mul_f64 v[72:73], v[18:19], v[26:27]
	s_waitcnt vmcnt(5)
	v_mul_f64 v[18:19], v[52:53], v[30:31]
	v_fmac_f64_e32 v[72:73], v[54:55], v[24:25]
	v_fma_f64 v[24:25], v[16:17], v[28:29], -v[18:19]
	v_mul_f64 v[26:27], v[16:17], v[30:31]
	global_load_dwordx4 v[16:19], v81, s[4:5] offset:32
	v_fmac_f64_e32 v[26:27], v[52:53], v[28:29]
	ds_read2_b64 v[52:55], v40 offset0:28 offset1:136
	s_waitcnt vmcnt(5)
	v_mul_f64 v[76:77], v[14:15], v[34:35]
	s_waitcnt vmcnt(4)
	v_mul_f64 v[30:31], v[12:13], v[58:59]
	s_waitcnt lgkmcnt(0)
	v_mul_f64 v[28:29], v[54:55], v[34:35]
	v_fma_f64 v[74:75], v[14:15], v[32:33], -v[28:29]
	v_mul_f64 v[14:15], v[52:53], v[58:59]
	v_fma_f64 v[28:29], v[12:13], v[56:57], -v[14:15]
	ds_read2_b64 v[12:15], v41 offset0:116 offset1:224
	v_fmac_f64_e32 v[76:77], v[54:55], v[32:33]
	v_fmac_f64_e32 v[30:31], v[52:53], v[56:57]
	global_load_dwordx4 v[52:55], v81, s[4:5] offset:48
	s_waitcnt vmcnt(3)
	v_mul_f64 v[58:59], v[10:11], v[66:67]
	s_waitcnt lgkmcnt(0)
	v_mul_f64 v[32:33], v[14:15], v[66:67]
	v_fma_f64 v[56:57], v[10:11], v[64:65], -v[32:33]
	v_fmac_f64_e32 v[58:59], v[14:15], v[64:65]
	s_waitcnt vmcnt(2)
	v_mul_f64 v[66:67], v[6:7], v[70:71]
	s_waitcnt vmcnt(1)
	v_mul_f64 v[10:11], v[12:13], v[18:19]
	v_fma_f64 v[64:65], v[8:9], v[16:17], -v[10:11]
	v_mul_f64 v[18:19], v[8:9], v[18:19]
	global_load_dwordx4 v[8:11], v81, s[4:5] offset:64
	v_fmac_f64_e32 v[18:19], v[12:13], v[16:17]
	ds_read2_b64 v[12:15], v42 offset0:76 offset1:184
	s_waitcnt lgkmcnt(0)
	v_mul_f64 v[16:17], v[14:15], v[70:71]
	v_fmac_f64_e32 v[66:67], v[14:15], v[68:69]
	ds_read_b64 v[14:15], v38 offset:9504
	v_fma_f64 v[16:17], v[6:7], v[68:69], -v[16:17]
	s_waitcnt vmcnt(1)
	v_mul_f64 v[6:7], v[12:13], v[54:55]
	v_mul_f64 v[34:35], v[4:5], v[54:55]
	v_fma_f64 v[32:33], v[4:5], v[52:53], -v[6:7]
	v_fmac_f64_e32 v[34:35], v[12:13], v[52:53]
	ds_read2_b64 v[4:7], v38 offset1:216
	ds_read_b64 v[52:53], v43
	s_waitcnt lgkmcnt(0)
	s_barrier
	s_waitcnt vmcnt(0)
	v_mul_f64 v[12:13], v[14:15], v[10:11]
	v_mul_f64 v[54:55], v[22:23], v[10:11]
	v_fma_f64 v[12:13], v[22:23], v[8:9], -v[12:13]
	v_fmac_f64_e32 v[54:55], v[14:15], v[8:9]
	v_mul_f64 v[8:9], v[6:7], v[62:63]
	v_fma_f64 v[8:9], v[2:3], v[60:61], -v[8:9]
	v_mul_f64 v[2:3], v[2:3], v[62:63]
	v_add_f64 v[10:11], v[46:47], v[56:57]
	v_fmac_f64_e32 v[2:3], v[6:7], v[60:61]
	v_add_f64 v[6:7], v[0:1], v[46:47]
	v_fmac_f64_e32 v[0:1], -0.5, v[10:11]
	v_add_f64 v[10:11], v[72:73], -v[58:59]
	v_add_f64 v[22:23], v[74:75], v[16:17]
	v_fma_f64 v[14:15], s[0:1], v[10:11], v[0:1]
	v_fmac_f64_e32 v[0:1], s[2:3], v[10:11]
	v_add_f64 v[10:11], v[8:9], v[74:75]
	v_fmac_f64_e32 v[8:9], -0.5, v[22:23]
	v_add_f64 v[22:23], v[76:77], -v[66:67]
	v_add_f64 v[62:63], v[76:77], v[66:67]
	v_fma_f64 v[60:61], s[0:1], v[22:23], v[8:9]
	v_fmac_f64_e32 v[8:9], s[2:3], v[22:23]
	v_add_f64 v[22:23], v[2:3], v[76:77]
	v_fmac_f64_e32 v[2:3], -0.5, v[62:63]
	v_add_f64 v[62:63], v[74:75], -v[16:17]
	v_fma_f64 v[68:69], s[2:3], v[62:63], v[2:3]
	v_fmac_f64_e32 v[2:3], s[0:1], v[62:63]
	v_mul_f64 v[62:63], v[8:9], -0.5
	v_fmac_f64_e32 v[62:63], s[0:1], v[2:3]
	v_add_f64 v[70:71], v[0:1], v[62:63]
	v_add_f64 v[0:1], v[0:1], -v[62:63]
	v_add_f64 v[62:63], v[4:5], v[72:73]
	v_add_f64 v[72:73], v[72:73], v[58:59]
	v_fmac_f64_e32 v[4:5], -0.5, v[72:73]
	v_add_f64 v[46:47], v[46:47], -v[56:57]
	v_mul_f64 v[2:3], v[2:3], -0.5
	v_fma_f64 v[72:73], s[2:3], v[46:47], v[4:5]
	v_fmac_f64_e32 v[4:5], s[0:1], v[46:47]
	v_fmac_f64_e32 v[2:3], s[2:3], v[8:9]
	v_add_f64 v[46:47], v[4:5], v[2:3]
	v_add_f64 v[74:75], v[4:5], -v[2:3]
	v_add_f64 v[2:3], v[6:7], v[56:57]
	v_mul_u32_u24_e32 v6, 0x120, v45
	v_mov_b32_e32 v45, 3
	v_lshlrev_b32_sdwa v7, v45, v78 dst_sel:DWORD dst_unused:UNUSED_PAD src0_sel:DWORD src1_sel:BYTE_0
	v_add3_u32 v76, 0, v6, v7
	v_mul_f64 v[6:7], v[68:69], s[0:1]
	v_add_f64 v[4:5], v[10:11], v[16:17]
	v_fmac_f64_e32 v[6:7], 0.5, v[60:61]
	v_add_f64 v[8:9], v[2:3], v[4:5]
	v_add_f64 v[2:3], v[2:3], -v[4:5]
	v_add_f64 v[4:5], v[14:15], -v[6:7]
	ds_write2_b64 v76, v[4:5], v[0:1] offset0:24 offset1:30
	v_add_f64 v[4:5], v[64:65], v[12:13]
	v_add_f64 v[0:1], v[24:25], v[64:65]
	v_fmac_f64_e32 v[24:25], -0.5, v[4:5]
	v_add_f64 v[4:5], v[18:19], -v[54:55]
	v_add_f64 v[56:57], v[62:63], v[58:59]
	v_fma_f64 v[62:63], s[0:1], v[4:5], v[24:25]
	v_fmac_f64_e32 v[24:25], s[2:3], v[4:5]
	v_add_f64 v[4:5], v[18:19], v[54:55]
	v_add_f64 v[58:59], v[22:23], v[66:67]
	ds_write2_b64 v76, v[70:71], v[2:3] offset0:12 offset1:18
	v_add_f64 v[2:3], v[20:21], v[28:29]
	v_add_f64 v[66:67], v[26:27], v[18:19]
	v_fmac_f64_e32 v[26:27], -0.5, v[4:5]
	v_add_f64 v[4:5], v[64:65], -v[12:13]
	v_add_f64 v[10:11], v[14:15], v[6:7]
	v_mul_f64 v[60:61], v[60:61], s[2:3]
	v_add_f64 v[6:7], v[28:29], v[32:33]
	v_add_f64 v[2:3], v[2:3], v[32:33]
	;; [unrolled: 1-line block ×3, first 2 shown]
	v_fma_f64 v[64:65], s[2:3], v[4:5], v[26:27]
	v_fmac_f64_e32 v[60:61], 0.5, v[68:69]
	v_fmac_f64_e32 v[20:21], -0.5, v[6:7]
	v_add_f64 v[6:7], v[30:31], -v[34:35]
	v_fmac_f64_e32 v[26:27], s[0:1], v[4:5]
	v_add_f64 v[4:5], v[2:3], v[0:1]
	v_add_f64 v[0:1], v[2:3], -v[0:1]
	v_mul_f64 v[2:3], v[64:65], s[0:1]
	ds_write2_b64 v76, v[8:9], v[10:11] offset1:6
	v_fma_f64 v[8:9], s[0:1], v[6:7], v[20:21]
	v_fmac_f64_e32 v[2:3], 0.5, v[62:63]
	v_add_f64 v[68:69], v[56:57], v[58:59]
	v_add_f64 v[70:71], v[72:73], v[60:61]
	v_add_f64 v[56:57], v[56:57], -v[58:59]
	v_add_f64 v[58:59], v[72:73], -v[60:61]
	v_add_f64 v[60:61], v[52:53], v[30:31]
	v_add_f64 v[30:31], v[30:31], v[34:35]
	v_fmac_f64_e32 v[20:21], s[2:3], v[6:7]
	v_add_f64 v[6:7], v[8:9], v[2:3]
	v_add_f64 v[2:3], v[8:9], -v[2:3]
	v_mul_f64 v[8:9], v[24:25], -0.5
	v_fmac_f64_e32 v[52:53], -0.5, v[30:31]
	v_add_f64 v[28:29], v[28:29], -v[32:33]
	v_fmac_f64_e32 v[8:9], s[0:1], v[26:27]
	v_mul_u32_u24_e32 v12, 0x120, v79
	v_lshlrev_b32_sdwa v13, v45, v80 dst_sel:DWORD dst_unused:UNUSED_PAD src0_sel:DWORD src1_sel:BYTE_0
	v_add_f64 v[60:61], v[60:61], v[34:35]
	v_fma_f64 v[30:31], s[2:3], v[28:29], v[52:53]
	v_fmac_f64_e32 v[52:53], s[0:1], v[28:29]
	v_add_f64 v[28:29], v[66:67], v[54:55]
	v_mul_f64 v[32:33], v[62:63], s[2:3]
	v_mul_f64 v[26:27], v[26:27], -0.5
	v_add_f64 v[10:11], v[20:21], v[8:9]
	v_add_f64 v[8:9], v[20:21], -v[8:9]
	v_add3_u32 v77, 0, v12, v13
	v_fmac_f64_e32 v[32:33], 0.5, v[64:65]
	v_fmac_f64_e32 v[26:27], s[2:3], v[24:25]
	v_add_f64 v[24:25], v[60:61], v[28:29]
	ds_write2_b64 v77, v[4:5], v[6:7] offset1:6
	ds_write2_b64 v77, v[10:11], v[0:1] offset0:12 offset1:18
	ds_write2_b64 v77, v[2:3], v[8:9] offset0:24 offset1:30
	s_waitcnt lgkmcnt(0)
	s_barrier
	ds_read2_b64 v[0:3], v38 offset1:216
	ds_read2_b64 v[16:19], v39 offset0:68 offset1:176
	ds_read_b64 v[20:21], v43
	ds_read_b64 v[22:23], v38 offset:9504
	ds_read2_b64 v[12:15], v40 offset0:28 offset1:136
	ds_read2_b64 v[8:11], v41 offset0:116 offset1:224
	;; [unrolled: 1-line block ×3, first 2 shown]
	s_waitcnt lgkmcnt(0)
	s_barrier
	ds_write2_b64 v76, v[68:69], v[70:71] offset1:6
	v_add_f64 v[28:29], v[60:61], -v[28:29]
	v_add_f64 v[34:35], v[30:31], v[32:33]
	v_add_f64 v[30:31], v[30:31], -v[32:33]
	v_add_f64 v[32:33], v[52:53], v[26:27]
	v_add_f64 v[26:27], v[52:53], -v[26:27]
	ds_write2_b64 v76, v[46:47], v[56:57] offset0:12 offset1:18
	ds_write2_b64 v76, v[58:59], v[74:75] offset0:24 offset1:30
	ds_write2_b64 v77, v[24:25], v[34:35] offset1:6
	ds_write2_b64 v77, v[32:33], v[28:29] offset0:12 offset1:18
	ds_write2_b64 v77, v[30:31], v[26:27] offset0:24 offset1:30
	v_mov_b32_e32 v24, 57
	v_mul_lo_u16_sdwa v25, v50, v24 dst_sel:DWORD dst_unused:UNUSED_PAD src0_sel:BYTE_0 src1_sel:DWORD
	v_lshrrev_b16_e32 v76, 11, v25
	v_mul_lo_u16_e32 v25, 36, v76
	v_sub_u16_e32 v77, v50, v25
	v_mul_u32_u24_sdwa v25, v77, v44 dst_sel:DWORD dst_unused:UNUSED_PAD src0_sel:BYTE_0 src1_sel:DWORD
	v_lshlrev_b32_e32 v68, 4, v25
	s_waitcnt lgkmcnt(0)
	s_barrier
	v_mul_lo_u16_sdwa v28, v51, v24 dst_sel:DWORD dst_unused:UNUSED_PAD src0_sel:BYTE_0 src1_sel:DWORD
	global_load_dwordx4 v[24:27], v68, s[4:5] offset:496
	v_lshrrev_b16_e32 v78, 11, v28
	v_mul_lo_u16_e32 v28, 36, v78
	v_sub_u16_e32 v79, v51, v28
	v_mul_u32_u24_sdwa v28, v79, v44 dst_sel:DWORD dst_unused:UNUSED_PAD src0_sel:BYTE_0 src1_sel:DWORD
	v_lshlrev_b32_e32 v44, 4, v28
	global_load_dwordx4 v[28:31], v44, s[4:5] offset:480
	global_load_dwordx4 v[32:35], v68, s[4:5] offset:512
	ds_read2_b64 v[52:55], v39 offset0:68 offset1:176
	global_load_dwordx4 v[56:59], v44, s[4:5] offset:496
	global_load_dwordx4 v[60:63], v68, s[4:5] offset:480
	s_waitcnt vmcnt(4) lgkmcnt(0)
	v_mul_f64 v[46:47], v[54:55], v[26:27]
	v_mul_f64 v[72:73], v[18:19], v[26:27]
	v_fma_f64 v[46:47], v[18:19], v[24:25], -v[46:47]
	v_fmac_f64_e32 v[72:73], v[54:55], v[24:25]
	global_load_dwordx4 v[24:27], v68, s[4:5] offset:528
	global_load_dwordx4 v[64:67], v68, s[4:5] offset:544
	s_waitcnt vmcnt(5)
	v_mul_f64 v[18:19], v[52:53], v[30:31]
	global_load_dwordx4 v[68:71], v44, s[4:5] offset:512
	v_fma_f64 v[18:19], v[16:17], v[28:29], -v[18:19]
	v_mul_f64 v[16:17], v[16:17], v[30:31]
	v_fmac_f64_e32 v[16:17], v[52:53], v[28:29]
	ds_read2_b64 v[28:31], v40 offset0:28 offset1:136
	s_waitcnt vmcnt(4)
	v_mul_f64 v[54:55], v[12:13], v[58:59]
	s_waitcnt lgkmcnt(0)
	v_mul_f64 v[52:53], v[30:31], v[34:35]
	v_fma_f64 v[52:53], v[14:15], v[32:33], -v[52:53]
	v_mul_f64 v[34:35], v[14:15], v[34:35]
	v_mul_f64 v[14:15], v[28:29], v[58:59]
	v_fmac_f64_e32 v[34:35], v[30:31], v[32:33]
	v_fma_f64 v[32:33], v[12:13], v[56:57], -v[14:15]
	ds_read2_b64 v[12:15], v41 offset0:116 offset1:224
	v_fmac_f64_e32 v[54:55], v[28:29], v[56:57]
	global_load_dwordx4 v[28:31], v44, s[4:5] offset:528
	s_waitcnt vmcnt(3) lgkmcnt(0)
	v_mul_f64 v[56:57], v[14:15], v[26:27]
	v_fma_f64 v[56:57], v[10:11], v[24:25], -v[56:57]
	v_mul_f64 v[26:27], v[10:11], v[26:27]
	s_waitcnt vmcnt(1)
	v_mul_f64 v[10:11], v[12:13], v[70:71]
	v_fmac_f64_e32 v[26:27], v[14:15], v[24:25]
	v_fma_f64 v[24:25], v[8:9], v[68:69], -v[10:11]
	v_mul_f64 v[58:59], v[8:9], v[70:71]
	global_load_dwordx4 v[8:11], v44, s[4:5] offset:544
	v_fmac_f64_e32 v[58:59], v[12:13], v[68:69]
	ds_read2_b64 v[12:15], v42 offset0:76 offset1:184
	s_waitcnt lgkmcnt(0)
	v_mul_f64 v[68:69], v[14:15], v[66:67]
	v_mul_f64 v[66:67], v[6:7], v[66:67]
	v_fma_f64 v[68:69], v[6:7], v[64:65], -v[68:69]
	v_fmac_f64_e32 v[66:67], v[14:15], v[64:65]
	ds_read_b64 v[64:65], v38 offset:9504
	s_waitcnt vmcnt(1)
	v_mul_f64 v[6:7], v[12:13], v[30:31]
	v_mul_f64 v[30:31], v[4:5], v[30:31]
	v_fma_f64 v[14:15], v[4:5], v[28:29], -v[6:7]
	v_fmac_f64_e32 v[30:31], v[12:13], v[28:29]
	ds_read2_b64 v[4:7], v38 offset1:216
	ds_read_b64 v[12:13], v43
	s_waitcnt lgkmcnt(0)
	s_barrier
	s_waitcnt vmcnt(0)
	v_mul_f64 v[28:29], v[64:65], v[10:11]
	v_mul_f64 v[10:11], v[22:23], v[10:11]
	v_fma_f64 v[28:29], v[22:23], v[8:9], -v[28:29]
	v_fmac_f64_e32 v[10:11], v[64:65], v[8:9]
	v_mul_f64 v[8:9], v[6:7], v[62:63]
	v_fma_f64 v[8:9], v[2:3], v[60:61], -v[8:9]
	v_mul_f64 v[2:3], v[2:3], v[62:63]
	v_add_f64 v[22:23], v[46:47], v[56:57]
	v_fmac_f64_e32 v[2:3], v[6:7], v[60:61]
	v_add_f64 v[6:7], v[0:1], v[46:47]
	v_fmac_f64_e32 v[0:1], -0.5, v[22:23]
	v_add_f64 v[22:23], v[72:73], -v[26:27]
	v_add_f64 v[62:63], v[52:53], v[68:69]
	v_fma_f64 v[60:61], s[0:1], v[22:23], v[0:1]
	v_fmac_f64_e32 v[0:1], s[2:3], v[22:23]
	v_add_f64 v[22:23], v[8:9], v[52:53]
	v_fmac_f64_e32 v[8:9], -0.5, v[62:63]
	v_add_f64 v[62:63], v[34:35], -v[66:67]
	v_fma_f64 v[64:65], s[0:1], v[62:63], v[8:9]
	v_fmac_f64_e32 v[8:9], s[2:3], v[62:63]
	v_add_f64 v[62:63], v[2:3], v[34:35]
	v_add_f64 v[34:35], v[34:35], v[66:67]
	v_fmac_f64_e32 v[2:3], -0.5, v[34:35]
	v_add_f64 v[34:35], v[52:53], -v[68:69]
	v_fma_f64 v[52:53], s[2:3], v[34:35], v[2:3]
	v_fmac_f64_e32 v[2:3], s[0:1], v[34:35]
	v_mul_f64 v[34:35], v[8:9], -0.5
	v_fmac_f64_e32 v[34:35], s[0:1], v[2:3]
	v_add_f64 v[70:71], v[0:1], v[34:35]
	v_add_f64 v[0:1], v[0:1], -v[34:35]
	v_add_f64 v[34:35], v[4:5], v[72:73]
	v_add_f64 v[72:73], v[72:73], v[26:27]
	v_fmac_f64_e32 v[4:5], -0.5, v[72:73]
	v_add_f64 v[46:47], v[46:47], -v[56:57]
	v_mul_f64 v[2:3], v[2:3], -0.5
	v_fma_f64 v[72:73], s[2:3], v[46:47], v[4:5]
	v_fmac_f64_e32 v[4:5], s[0:1], v[46:47]
	v_fmac_f64_e32 v[2:3], s[2:3], v[8:9]
	v_add_f64 v[46:47], v[4:5], v[2:3]
	v_add_f64 v[74:75], v[4:5], -v[2:3]
	v_add_f64 v[2:3], v[6:7], v[56:57]
	v_mul_u32_u24_e32 v6, 0x6c0, v76
	v_lshlrev_b32_sdwa v7, v45, v77 dst_sel:DWORD dst_unused:UNUSED_PAD src0_sel:DWORD src1_sel:BYTE_0
	v_add3_u32 v44, 0, v6, v7
	v_mul_f64 v[6:7], v[52:53], s[0:1]
	v_add_f64 v[4:5], v[22:23], v[68:69]
	v_fmac_f64_e32 v[6:7], 0.5, v[64:65]
	v_add_f64 v[8:9], v[2:3], v[4:5]
	v_add_f64 v[22:23], v[60:61], v[6:7]
	ds_write2_b64 v44, v[8:9], v[22:23] offset1:36
	v_add_f64 v[8:9], v[34:35], v[26:27]
	v_add_f64 v[22:23], v[62:63], v[66:67]
	v_mul_f64 v[26:27], v[64:65], s[2:3]
	v_fmac_f64_e32 v[26:27], 0.5, v[52:53]
	v_add_f64 v[34:35], v[8:9], v[22:23]
	v_add_f64 v[52:53], v[8:9], -v[22:23]
	v_add_f64 v[8:9], v[32:33], v[14:15]
	v_add_f64 v[2:3], v[2:3], -v[4:5]
	v_add_f64 v[4:5], v[60:61], -v[6:7]
	v_add_f64 v[6:7], v[20:21], v[32:33]
	v_fmac_f64_e32 v[20:21], -0.5, v[8:9]
	v_add_f64 v[8:9], v[54:55], -v[30:31]
	v_fma_f64 v[22:23], s[0:1], v[8:9], v[20:21]
	v_fmac_f64_e32 v[20:21], s[2:3], v[8:9]
	v_add_f64 v[8:9], v[12:13], v[54:55]
	v_add_f64 v[8:9], v[8:9], v[30:31]
	;; [unrolled: 1-line block ×3, first 2 shown]
	v_fmac_f64_e32 v[12:13], -0.5, v[30:31]
	v_add_f64 v[6:7], v[6:7], v[14:15]
	v_add_f64 v[14:15], v[32:33], -v[14:15]
	v_add_f64 v[32:33], v[24:25], v[28:29]
	v_fma_f64 v[30:31], s[2:3], v[14:15], v[12:13]
	v_fmac_f64_e32 v[12:13], s[0:1], v[14:15]
	v_add_f64 v[14:15], v[18:19], v[24:25]
	v_fmac_f64_e32 v[18:19], -0.5, v[32:33]
	v_add_f64 v[32:33], v[58:59], -v[10:11]
	v_fma_f64 v[54:55], s[0:1], v[32:33], v[18:19]
	v_fmac_f64_e32 v[18:19], s[2:3], v[32:33]
	v_add_f64 v[32:33], v[16:17], v[58:59]
	v_add_f64 v[32:33], v[32:33], v[10:11]
	;; [unrolled: 1-line block ×3, first 2 shown]
	v_fmac_f64_e32 v[16:17], -0.5, v[10:11]
	v_add_f64 v[10:11], v[14:15], v[28:29]
	v_add_f64 v[14:15], v[24:25], -v[28:29]
	v_fma_f64 v[24:25], s[2:3], v[14:15], v[16:17]
	v_mul_f64 v[28:29], v[54:55], s[2:3]
	v_fmac_f64_e32 v[16:17], s[0:1], v[14:15]
	v_mul_f64 v[14:15], v[24:25], s[0:1]
	v_fmac_f64_e32 v[28:29], 0.5, v[24:25]
	v_mul_f64 v[24:25], v[18:19], -0.5
	v_fmac_f64_e32 v[14:15], 0.5, v[54:55]
	v_fmac_f64_e32 v[24:25], s[0:1], v[16:17]
	v_mul_f64 v[16:17], v[16:17], -0.5
	ds_write2_b64 v44, v[70:71], v[2:3] offset0:72 offset1:108
	ds_write2_b64 v44, v[4:5], v[0:1] offset0:144 offset1:180
	v_mul_u32_u24_e32 v0, 0x6c0, v78
	v_lshlrev_b32_sdwa v1, v45, v79 dst_sel:DWORD dst_unused:UNUSED_PAD src0_sel:DWORD src1_sel:BYTE_0
	v_fmac_f64_e32 v[16:17], s[2:3], v[18:19]
	v_add_f64 v[18:19], v[6:7], v[10:11]
	v_add_f64 v[6:7], v[6:7], -v[10:11]
	v_add_f64 v[10:11], v[22:23], v[14:15]
	v_add_f64 v[14:15], v[22:23], -v[14:15]
	v_add_f64 v[22:23], v[20:21], v[24:25]
	v_add_f64 v[20:21], v[20:21], -v[24:25]
	v_add3_u32 v45, 0, v0, v1
	v_add_f64 v[24:25], v[8:9], v[32:33]
	v_add_f64 v[32:33], v[8:9], -v[32:33]
	v_add_f64 v[54:55], v[30:31], v[28:29]
	v_add_f64 v[28:29], v[30:31], -v[28:29]
	;; [unrolled: 2-line block ×3, first 2 shown]
	ds_write2_b64 v45, v[18:19], v[10:11] offset1:36
	ds_write2_b64 v45, v[22:23], v[6:7] offset0:72 offset1:108
	ds_write2_b64 v45, v[14:15], v[20:21] offset0:144 offset1:180
	s_waitcnt lgkmcnt(0)
	s_barrier
	ds_read2_b64 v[0:3], v38 offset1:216
	ds_read2_b64 v[16:19], v39 offset0:68 offset1:176
	ds_read2_b64 v[8:11], v40 offset0:28 offset1:136
	;; [unrolled: 1-line block ×4, first 2 shown]
	ds_read_b64 v[20:21], v43
	ds_read_b64 v[22:23], v38 offset:9504
	v_add_f64 v[56:57], v[72:73], v[26:27]
	v_add_f64 v[26:27], v[72:73], -v[26:27]
	s_waitcnt lgkmcnt(0)
	s_barrier
	ds_write2_b64 v44, v[34:35], v[56:57] offset1:36
	ds_write2_b64 v44, v[46:47], v[52:53] offset0:72 offset1:108
	ds_write2_b64 v44, v[26:27], v[74:75] offset0:144 offset1:180
	ds_write2_b64 v45, v[24:25], v[54:55] offset1:36
	ds_write2_b64 v45, v[30:31], v[32:33] offset0:72 offset1:108
	ds_write2_b64 v45, v[28:29], v[58:59] offset0:144 offset1:180
	s_waitcnt lgkmcnt(0)
	s_barrier
	s_and_saveexec_b64 s[6:7], vcc
	s_cbranch_execz .LBB0_15
; %bb.14:
	v_mul_i32_i24_e32 v24, 5, v51
	v_mov_b32_e32 v25, 0
	v_lshl_add_u64 v[46:47], v[24:25], 4, s[4:5]
	global_load_dwordx4 v[24:27], v[46:47], off offset:3360
	v_mul_u32_u24_e32 v28, 5, v50
	v_lshlrev_b32_e32 v78, 4, v28
	global_load_dwordx4 v[28:31], v78, s[4:5] offset:3376
	global_load_dwordx4 v[32:35], v[46:47], off offset:3376
	global_load_dwordx4 v[38:41], v[46:47], off offset:3408
	;; [unrolled: 1-line block ×4, first 2 shown]
	v_mul_i32_i24_e32 v46, 0xffffffd8, v50
	v_mul_i32_i24_e32 v47, 0xffffffd8, v51
	v_add_u32_e32 v51, v36, v46
	v_add_u32_e32 v79, v37, v47
	;; [unrolled: 1-line block ×3, first 2 shown]
	ds_read2_b64 v[56:59], v37 offset0:68 offset1:176
	global_load_dwordx4 v[60:63], v78, s[4:5] offset:3360
	global_load_dwordx4 v[64:67], v78, s[4:5] offset:3408
	v_add_u32_e32 v36, 0x1000, v51
	v_add_u32_e32 v72, 0x1c00, v51
	ds_read2_b64 v[68:71], v36 offset0:28 offset1:136
	ds_read2_b64 v[72:75], v72 offset0:76 offset1:184
	v_add_u32_e32 v80, 0x1400, v51
	s_waitcnt vmcnt(7) lgkmcnt(2)
	v_mul_f64 v[36:37], v[56:57], v[26:27]
	v_mul_f64 v[46:47], v[16:17], v[26:27]
	v_fma_f64 v[16:17], v[16:17], v[24:25], -v[36:37]
	v_fmac_f64_e32 v[46:47], v[24:25], v[56:57]
	s_waitcnt vmcnt(6)
	v_mul_f64 v[24:25], v[58:59], v[30:31]
	v_mul_f64 v[56:57], v[18:19], v[30:31]
	v_fma_f64 v[76:77], v[18:19], v[28:29], -v[24:25]
	v_fmac_f64_e32 v[56:57], v[28:29], v[58:59]
	ds_read2_b64 v[26:29], v80 offset0:116 offset1:224
	s_waitcnt vmcnt(5) lgkmcnt(2)
	v_mul_f64 v[18:19], v[68:69], v[34:35]
	s_waitcnt vmcnt(4) lgkmcnt(1)
	v_mul_f64 v[30:31], v[72:73], v[40:41]
	v_mul_f64 v[24:25], v[8:9], v[34:35]
	v_fma_f64 v[8:9], v[8:9], v[32:33], -v[18:19]
	v_mul_f64 v[18:19], v[4:5], v[40:41]
	v_fma_f64 v[4:5], v[4:5], v[38:39], -v[30:31]
	ds_read_b64 v[30:31], v51 offset:9504
	s_waitcnt vmcnt(3)
	v_mul_f64 v[34:35], v[12:13], v[44:45]
	v_fmac_f64_e32 v[24:25], v[32:33], v[68:69]
	s_waitcnt lgkmcnt(1)
	v_mul_f64 v[32:33], v[26:27], v[44:45]
	v_fmac_f64_e32 v[34:35], v[42:43], v[26:27]
	ds_read_b64 v[26:27], v79
	v_fmac_f64_e32 v[18:19], v[38:39], v[72:73]
	v_fma_f64 v[12:13], v[12:13], v[42:43], -v[32:33]
	s_waitcnt vmcnt(2) lgkmcnt(1)
	v_mul_f64 v[32:33], v[30:31], v[54:55]
	v_fma_f64 v[38:39], v[22:23], v[52:53], -v[32:33]
	v_mul_f64 v[22:23], v[22:23], v[54:55]
	v_add_f64 v[32:33], v[24:25], v[18:19]
	v_fmac_f64_e32 v[22:23], v[52:53], v[30:31]
	s_waitcnt lgkmcnt(0)
	v_fma_f64 v[40:41], -0.5, v[32:33], v[26:27]
	v_add_f64 v[26:27], v[24:25], v[26:27]
	v_add_f64 v[36:37], v[12:13], v[38:39]
	v_add_f64 v[24:25], v[24:25], -v[18:19]
	v_add_f64 v[42:43], v[18:19], v[26:27]
	v_add_f64 v[18:19], v[34:35], v[22:23]
	v_fma_f64 v[18:19], -0.5, v[18:19], v[46:47]
	v_add_f64 v[26:27], v[46:47], v[34:35]
	v_add_f64 v[32:33], v[34:35], -v[22:23]
	v_fma_f64 v[34:35], -0.5, v[36:37], v[16:17]
	v_add_f64 v[44:45], v[16:17], v[12:13]
	v_add_f64 v[12:13], v[12:13], -v[38:39]
	v_add_f64 v[16:17], v[8:9], v[4:5]
	v_add_f64 v[30:31], v[8:9], -v[4:5]
	v_add_f64 v[46:47], v[26:27], v[22:23]
	v_add_f64 v[8:9], v[20:21], v[8:9]
	v_fma_f64 v[26:27], -0.5, v[16:17], v[20:21]
	v_fma_f64 v[20:21], s[0:1], v[12:13], v[18:19]
	v_fma_f64 v[16:17], s[2:3], v[32:33], v[34:35]
	v_fmac_f64_e32 v[18:19], s[2:3], v[12:13]
	v_fmac_f64_e32 v[34:35], s[0:1], v[32:33]
	v_mul_f64 v[22:23], v[20:21], -0.5
	v_add_f64 v[4:5], v[8:9], v[4:5]
	v_fma_f64 v[8:9], s[0:1], v[30:31], v[40:41]
	v_fma_f64 v[12:13], s[2:3], v[24:25], v[26:27]
	v_fmac_f64_e32 v[26:27], s[0:1], v[24:25]
	v_mul_f64 v[24:25], v[34:35], s[2:3]
	v_fmac_f64_e32 v[22:23], s[2:3], v[16:17]
	v_mul_f64 v[52:53], v[18:19], s[0:1]
	v_fmac_f64_e32 v[40:41], s[2:3], v[30:31]
	v_mul_f64 v[30:31], v[16:17], -0.5
	v_fmac_f64_e32 v[24:25], 0.5, v[18:19]
	v_fmac_f64_e32 v[52:53], 0.5, v[34:35]
	v_add_f64 v[18:19], v[8:9], -v[22:23]
	v_add_f64 v[32:33], v[8:9], v[22:23]
	v_add_f64 v[8:9], v[44:45], v[38:39]
	v_fmac_f64_e32 v[30:31], s[0:1], v[20:21]
	v_add_f64 v[22:23], v[40:41], -v[24:25]
	v_add_f64 v[20:21], v[26:27], -v[52:53]
	v_add_f64 v[36:37], v[40:41], v[24:25]
	v_add_f64 v[34:35], v[26:27], v[52:53]
	v_add_f64 v[26:27], v[42:43], -v[46:47]
	v_add_f64 v[24:25], v[4:5], -v[8:9]
	v_add_f64 v[40:41], v[42:43], v[46:47]
	v_add_f64 v[38:39], v[4:5], v[8:9]
	global_load_dwordx4 v[42:45], v78, s[4:5] offset:3392
	s_waitcnt vmcnt(1)
	v_mul_f64 v[4:5], v[28:29], v[66:67]
	v_add_f64 v[16:17], v[12:13], -v[30:31]
	v_add_f64 v[30:31], v[12:13], v[30:31]
	v_fma_f64 v[46:47], v[14:15], v[64:65], -v[4:5]
	v_mul_f64 v[58:59], v[14:15], v[66:67]
	global_load_dwordx4 v[12:15], v78, s[4:5] offset:3424
	ds_read2_b64 v[52:55], v51 offset1:216
	v_fmac_f64_e32 v[58:59], v[64:65], v[28:29]
	v_add_f64 v[4:5], v[76:77], -v[46:47]
	s_waitcnt vmcnt(1)
	v_mul_f64 v[8:9], v[70:71], v[44:45]
	v_fma_f64 v[28:29], v[10:11], v[42:43], -v[8:9]
	v_mul_f64 v[8:9], v[10:11], v[44:45]
	v_add_f64 v[10:11], v[56:57], v[58:59]
	s_waitcnt lgkmcnt(0)
	v_fma_f64 v[64:65], -0.5, v[10:11], v[52:53]
	v_mul_f64 v[10:11], v[54:55], v[62:63]
	s_waitcnt vmcnt(0)
	v_mul_f64 v[44:45], v[74:75], v[14:15]
	v_fma_f64 v[44:45], v[6:7], v[12:13], -v[44:45]
	v_mul_f64 v[6:7], v[6:7], v[14:15]
	v_fmac_f64_e32 v[8:9], v[42:43], v[70:71]
	v_fma_f64 v[10:11], v[2:3], v[60:61], -v[10:11]
	v_fmac_f64_e32 v[6:7], v[12:13], v[74:75]
	v_mul_f64 v[2:3], v[2:3], v[62:63]
	v_fmac_f64_e32 v[2:3], v[60:61], v[54:55]
	v_add_f64 v[54:55], v[8:9], v[6:7]
	v_add_f64 v[66:67], v[28:29], v[44:45]
	v_add_f64 v[68:69], v[28:29], -v[44:45]
	v_fma_f64 v[54:55], -0.5, v[54:55], v[2:3]
	v_fma_f64 v[66:67], -0.5, v[66:67], v[10:11]
	v_add_f64 v[12:13], v[8:9], -v[6:7]
	v_fma_f64 v[60:61], s[0:1], v[68:69], v[54:55]
	v_add_f64 v[2:3], v[2:3], v[8:9]
	v_fma_f64 v[14:15], s[2:3], v[12:13], v[66:67]
	v_mul_f64 v[62:63], v[60:61], -0.5
	v_add_f64 v[70:71], v[2:3], v[6:7]
	v_add_f64 v[2:3], v[76:77], v[46:47]
	v_fmac_f64_e32 v[62:63], s[2:3], v[14:15]
	v_fma_f64 v[72:73], -0.5, v[2:3], v[0:1]
	v_add_f64 v[2:3], v[56:57], -v[58:59]
	v_mul_f64 v[14:15], v[14:15], -0.5
	v_add_f64 v[0:1], v[0:1], v[76:77]
	v_add_f64 v[10:11], v[10:11], v[28:29]
	v_fma_f64 v[42:43], s[0:1], v[4:5], v[64:65]
	v_fmac_f64_e32 v[54:55], s[2:3], v[68:69]
	v_fmac_f64_e32 v[66:67], s[0:1], v[12:13]
	v_add_f64 v[12:13], v[56:57], v[52:53]
	v_fma_f64 v[56:57], s[2:3], v[2:3], v[72:73]
	v_fmac_f64_e32 v[14:15], s[0:1], v[60:61]
	v_add_f64 v[0:1], v[0:1], v[46:47]
	v_add_f64 v[28:29], v[10:11], v[44:45]
	v_fmac_f64_e32 v[64:65], s[2:3], v[4:5]
	v_add_f64 v[4:5], v[42:43], -v[62:63]
	v_fmac_f64_e32 v[72:73], s[0:1], v[2:3]
	v_add_f64 v[2:3], v[56:57], -v[14:15]
	v_mul_f64 v[60:61], v[54:55], s[0:1]
	v_add_f64 v[10:11], v[0:1], -v[28:29]
	v_add_f64 v[44:45], v[42:43], v[62:63]
	v_add_f64 v[42:43], v[56:57], v[14:15]
	;; [unrolled: 1-line block ×3, first 2 shown]
	v_mad_u64_u32 v[0:1], s[0:1], s8, v50, 0
	v_mov_b32_e32 v14, v1
	v_mad_u64_u32 v[14:15], s[0:1], s9, v50, v[14:15]
	v_add_f64 v[52:53], v[12:13], v[58:59]
	v_mov_b32_e32 v1, v14
	v_add_f64 v[58:59], v[52:53], v[70:71]
	v_lshl_add_u64 v[0:1], v[0:1], 4, v[48:49]
	v_add_u32_e32 v15, 0xd8, v50
	global_store_dwordx4 v[0:1], v[56:59], off
	v_mad_u64_u32 v[0:1], s[0:1], s8, v15, 0
	v_mov_b32_e32 v14, v1
	v_mul_f64 v[68:69], v[66:67], s[2:3]
	v_mad_u64_u32 v[14:15], s[0:1], s9, v15, v[14:15]
	v_fmac_f64_e32 v[68:69], 0.5, v[54:55]
	v_fmac_f64_e32 v[60:61], 0.5, v[66:67]
	v_mov_b32_e32 v1, v14
	v_add_f64 v[12:13], v[52:53], -v[70:71]
	v_add_f64 v[54:55], v[64:65], v[68:69]
	v_add_f64 v[52:53], v[72:73], v[60:61]
	v_lshl_add_u64 v[0:1], v[0:1], 4, v[48:49]
	v_add_u32_e32 v15, 0x1b0, v50
	global_store_dwordx4 v[0:1], v[52:55], off
	v_mad_u64_u32 v[0:1], s[0:1], s8, v15, 0
	v_mov_b32_e32 v14, v1
	v_mad_u64_u32 v[14:15], s[0:1], s9, v15, v[14:15]
	v_mov_b32_e32 v1, v14
	v_lshl_add_u64 v[0:1], v[0:1], 4, v[48:49]
	v_add_u32_e32 v15, 0x288, v50
	global_store_dwordx4 v[0:1], v[42:45], off
	v_mad_u64_u32 v[0:1], s[0:1], s8, v15, 0
	v_mov_b32_e32 v14, v1
	v_mad_u64_u32 v[14:15], s[0:1], s9, v15, v[14:15]
	v_mov_b32_e32 v1, v14
	v_lshl_add_u64 v[0:1], v[0:1], 4, v[48:49]
	global_store_dwordx4 v[0:1], v[10:13], off
	v_add_f64 v[8:9], v[64:65], -v[68:69]
	v_add_f64 v[6:7], v[72:73], -v[60:61]
	v_add_u32_e32 v11, 0x360, v50
	v_mad_u64_u32 v[0:1], s[0:1], s8, v11, 0
	v_mov_b32_e32 v10, v1
	v_mad_u64_u32 v[10:11], s[0:1], s9, v11, v[10:11]
	v_mov_b32_e32 v1, v10
	v_lshl_add_u64 v[0:1], v[0:1], 4, v[48:49]
	global_store_dwordx4 v[0:1], v[6:9], off
	s_movk_i32 s2, 0x438
	s_nop 0
	v_add_u32_e32 v7, 0x438, v50
	v_mad_u64_u32 v[0:1], s[0:1], s8, v7, 0
	v_mov_b32_e32 v6, v1
	v_mad_u64_u32 v[6:7], s[0:1], s9, v7, v[6:7]
	v_mov_b32_e32 v1, v6
	v_lshl_add_u64 v[0:1], v[0:1], 4, v[48:49]
	global_store_dwordx4 v[0:1], v[2:5], off
	v_add_u32_e32 v0, 0x6c, v50
	v_lshrrev_b32_e32 v1, 3, v0
	s_mov_b32 s0, 0x97b425f
	v_mul_hi_u32 v1, v1, s0
	v_mad_u32_u24 v4, v1, s2, v0
	v_mad_u64_u32 v[0:1], s[0:1], s8, v4, 0
	v_mov_b32_e32 v2, v1
	v_mad_u64_u32 v[2:3], s[0:1], s9, v4, v[2:3]
	v_mov_b32_e32 v1, v2
	v_lshl_add_u64 v[0:1], v[0:1], 4, v[48:49]
	v_add_u32_e32 v3, 0xd8, v4
	global_store_dwordx4 v[0:1], v[38:41], off
	v_mad_u64_u32 v[0:1], s[0:1], s8, v3, 0
	v_mov_b32_e32 v2, v1
	v_mad_u64_u32 v[2:3], s[0:1], s9, v3, v[2:3]
	v_mov_b32_e32 v1, v2
	v_lshl_add_u64 v[0:1], v[0:1], 4, v[48:49]
	v_add_u32_e32 v3, 0x1b0, v4
	global_store_dwordx4 v[0:1], v[34:37], off
	;; [unrolled: 7-line block ×5, first 2 shown]
	v_mad_u64_u32 v[0:1], s[0:1], s8, v3, 0
	v_mov_b32_e32 v2, v1
	v_mad_u64_u32 v[2:3], s[0:1], s9, v3, v[2:3]
	v_mov_b32_e32 v1, v2
	v_lshl_add_u64 v[0:1], v[0:1], 4, v[48:49]
	global_store_dwordx4 v[0:1], v[16:19], off
.LBB0_15:
	s_endpgm
	.section	.rodata,"a",@progbits
	.p2align	6, 0x0
	.amdhsa_kernel fft_rtc_fwd_len1296_factors_6_6_6_6_wgs_108_tpt_108_halfLds_dp_ip_CI_sbrr_dirReg
		.amdhsa_group_segment_fixed_size 0
		.amdhsa_private_segment_fixed_size 0
		.amdhsa_kernarg_size 88
		.amdhsa_user_sgpr_count 2
		.amdhsa_user_sgpr_dispatch_ptr 0
		.amdhsa_user_sgpr_queue_ptr 0
		.amdhsa_user_sgpr_kernarg_segment_ptr 1
		.amdhsa_user_sgpr_dispatch_id 0
		.amdhsa_user_sgpr_kernarg_preload_length 0
		.amdhsa_user_sgpr_kernarg_preload_offset 0
		.amdhsa_user_sgpr_private_segment_size 0
		.amdhsa_uses_dynamic_stack 0
		.amdhsa_enable_private_segment 0
		.amdhsa_system_sgpr_workgroup_id_x 1
		.amdhsa_system_sgpr_workgroup_id_y 0
		.amdhsa_system_sgpr_workgroup_id_z 0
		.amdhsa_system_sgpr_workgroup_info 0
		.amdhsa_system_vgpr_workitem_id 0
		.amdhsa_next_free_vgpr 82
		.amdhsa_next_free_sgpr 24
		.amdhsa_accum_offset 84
		.amdhsa_reserve_vcc 1
		.amdhsa_float_round_mode_32 0
		.amdhsa_float_round_mode_16_64 0
		.amdhsa_float_denorm_mode_32 3
		.amdhsa_float_denorm_mode_16_64 3
		.amdhsa_dx10_clamp 1
		.amdhsa_ieee_mode 1
		.amdhsa_fp16_overflow 0
		.amdhsa_tg_split 0
		.amdhsa_exception_fp_ieee_invalid_op 0
		.amdhsa_exception_fp_denorm_src 0
		.amdhsa_exception_fp_ieee_div_zero 0
		.amdhsa_exception_fp_ieee_overflow 0
		.amdhsa_exception_fp_ieee_underflow 0
		.amdhsa_exception_fp_ieee_inexact 0
		.amdhsa_exception_int_div_zero 0
	.end_amdhsa_kernel
	.text
.Lfunc_end0:
	.size	fft_rtc_fwd_len1296_factors_6_6_6_6_wgs_108_tpt_108_halfLds_dp_ip_CI_sbrr_dirReg, .Lfunc_end0-fft_rtc_fwd_len1296_factors_6_6_6_6_wgs_108_tpt_108_halfLds_dp_ip_CI_sbrr_dirReg
                                        ; -- End function
	.section	.AMDGPU.csdata,"",@progbits
; Kernel info:
; codeLenInByte = 7512
; NumSgprs: 30
; NumVgprs: 82
; NumAgprs: 0
; TotalNumVgprs: 82
; ScratchSize: 0
; MemoryBound: 1
; FloatMode: 240
; IeeeMode: 1
; LDSByteSize: 0 bytes/workgroup (compile time only)
; SGPRBlocks: 3
; VGPRBlocks: 10
; NumSGPRsForWavesPerEU: 30
; NumVGPRsForWavesPerEU: 82
; AccumOffset: 84
; Occupancy: 5
; WaveLimiterHint : 1
; COMPUTE_PGM_RSRC2:SCRATCH_EN: 0
; COMPUTE_PGM_RSRC2:USER_SGPR: 2
; COMPUTE_PGM_RSRC2:TRAP_HANDLER: 0
; COMPUTE_PGM_RSRC2:TGID_X_EN: 1
; COMPUTE_PGM_RSRC2:TGID_Y_EN: 0
; COMPUTE_PGM_RSRC2:TGID_Z_EN: 0
; COMPUTE_PGM_RSRC2:TIDIG_COMP_CNT: 0
; COMPUTE_PGM_RSRC3_GFX90A:ACCUM_OFFSET: 20
; COMPUTE_PGM_RSRC3_GFX90A:TG_SPLIT: 0
	.text
	.p2alignl 6, 3212836864
	.fill 256, 4, 3212836864
	.type	__hip_cuid_f816a988bf67b5b,@object ; @__hip_cuid_f816a988bf67b5b
	.section	.bss,"aw",@nobits
	.globl	__hip_cuid_f816a988bf67b5b
__hip_cuid_f816a988bf67b5b:
	.byte	0                               ; 0x0
	.size	__hip_cuid_f816a988bf67b5b, 1

	.ident	"AMD clang version 19.0.0git (https://github.com/RadeonOpenCompute/llvm-project roc-6.4.0 25133 c7fe45cf4b819c5991fe208aaa96edf142730f1d)"
	.section	".note.GNU-stack","",@progbits
	.addrsig
	.addrsig_sym __hip_cuid_f816a988bf67b5b
	.amdgpu_metadata
---
amdhsa.kernels:
  - .agpr_count:     0
    .args:
      - .actual_access:  read_only
        .address_space:  global
        .offset:         0
        .size:           8
        .value_kind:     global_buffer
      - .offset:         8
        .size:           8
        .value_kind:     by_value
      - .actual_access:  read_only
        .address_space:  global
        .offset:         16
        .size:           8
        .value_kind:     global_buffer
      - .actual_access:  read_only
        .address_space:  global
        .offset:         24
        .size:           8
        .value_kind:     global_buffer
      - .offset:         32
        .size:           8
        .value_kind:     by_value
      - .actual_access:  read_only
        .address_space:  global
        .offset:         40
        .size:           8
        .value_kind:     global_buffer
      - .actual_access:  read_only
        .address_space:  global
        .offset:         48
        .size:           8
        .value_kind:     global_buffer
      - .offset:         56
        .size:           4
        .value_kind:     by_value
      - .actual_access:  read_only
        .address_space:  global
        .offset:         64
        .size:           8
        .value_kind:     global_buffer
      - .actual_access:  read_only
        .address_space:  global
        .offset:         72
        .size:           8
        .value_kind:     global_buffer
      - .address_space:  global
        .offset:         80
        .size:           8
        .value_kind:     global_buffer
    .group_segment_fixed_size: 0
    .kernarg_segment_align: 8
    .kernarg_segment_size: 88
    .language:       OpenCL C
    .language_version:
      - 2
      - 0
    .max_flat_workgroup_size: 108
    .name:           fft_rtc_fwd_len1296_factors_6_6_6_6_wgs_108_tpt_108_halfLds_dp_ip_CI_sbrr_dirReg
    .private_segment_fixed_size: 0
    .sgpr_count:     30
    .sgpr_spill_count: 0
    .symbol:         fft_rtc_fwd_len1296_factors_6_6_6_6_wgs_108_tpt_108_halfLds_dp_ip_CI_sbrr_dirReg.kd
    .uniform_work_group_size: 1
    .uses_dynamic_stack: false
    .vgpr_count:     82
    .vgpr_spill_count: 0
    .wavefront_size: 64
amdhsa.target:   amdgcn-amd-amdhsa--gfx950
amdhsa.version:
  - 1
  - 2
...

	.end_amdgpu_metadata
